;; amdgpu-corpus repo=ROCm/rocFFT kind=compiled arch=gfx906 opt=O3
	.text
	.amdgcn_target "amdgcn-amd-amdhsa--gfx906"
	.amdhsa_code_object_version 6
	.protected	fft_rtc_back_len1386_factors_2_7_3_11_3_wgs_231_tpt_231_halfLds_dp_ip_CI_unitstride_sbrr_dirReg ; -- Begin function fft_rtc_back_len1386_factors_2_7_3_11_3_wgs_231_tpt_231_halfLds_dp_ip_CI_unitstride_sbrr_dirReg
	.globl	fft_rtc_back_len1386_factors_2_7_3_11_3_wgs_231_tpt_231_halfLds_dp_ip_CI_unitstride_sbrr_dirReg
	.p2align	8
	.type	fft_rtc_back_len1386_factors_2_7_3_11_3_wgs_231_tpt_231_halfLds_dp_ip_CI_unitstride_sbrr_dirReg,@function
fft_rtc_back_len1386_factors_2_7_3_11_3_wgs_231_tpt_231_halfLds_dp_ip_CI_unitstride_sbrr_dirReg: ; @fft_rtc_back_len1386_factors_2_7_3_11_3_wgs_231_tpt_231_halfLds_dp_ip_CI_unitstride_sbrr_dirReg
; %bb.0:
	s_load_dwordx2 s[2:3], s[4:5], 0x50
	s_load_dwordx4 s[8:11], s[4:5], 0x0
	s_load_dwordx2 s[12:13], s[4:5], 0x18
	v_mul_u32_u24_e32 v1, 0x11c, v0
	v_add_u32_sdwa v5, s6, v1 dst_sel:DWORD dst_unused:UNUSED_PAD src0_sel:DWORD src1_sel:WORD_1
	v_mov_b32_e32 v3, 0
	s_waitcnt lgkmcnt(0)
	v_cmp_lt_u64_e64 s[0:1], s[10:11], 2
	v_mov_b32_e32 v1, 0
	v_mov_b32_e32 v6, v3
	s_and_b64 vcc, exec, s[0:1]
	v_mov_b32_e32 v2, 0
	s_cbranch_vccnz .LBB0_8
; %bb.1:
	s_load_dwordx2 s[0:1], s[4:5], 0x10
	s_add_u32 s6, s12, 8
	s_addc_u32 s7, s13, 0
	v_mov_b32_e32 v1, 0
	v_mov_b32_e32 v2, 0
	s_waitcnt lgkmcnt(0)
	s_add_u32 s14, s0, 8
	s_addc_u32 s15, s1, 0
	s_mov_b64 s[16:17], 1
.LBB0_2:                                ; =>This Inner Loop Header: Depth=1
	s_load_dwordx2 s[18:19], s[14:15], 0x0
                                        ; implicit-def: $vgpr7_vgpr8
	s_waitcnt lgkmcnt(0)
	v_or_b32_e32 v4, s19, v6
	v_cmp_ne_u64_e32 vcc, 0, v[3:4]
	s_and_saveexec_b64 s[0:1], vcc
	s_xor_b64 s[20:21], exec, s[0:1]
	s_cbranch_execz .LBB0_4
; %bb.3:                                ;   in Loop: Header=BB0_2 Depth=1
	v_cvt_f32_u32_e32 v4, s18
	v_cvt_f32_u32_e32 v7, s19
	s_sub_u32 s0, 0, s18
	s_subb_u32 s1, 0, s19
	v_mac_f32_e32 v4, 0x4f800000, v7
	v_rcp_f32_e32 v4, v4
	v_mul_f32_e32 v4, 0x5f7ffffc, v4
	v_mul_f32_e32 v7, 0x2f800000, v4
	v_trunc_f32_e32 v7, v7
	v_mac_f32_e32 v4, 0xcf800000, v7
	v_cvt_u32_f32_e32 v7, v7
	v_cvt_u32_f32_e32 v4, v4
	v_mul_lo_u32 v8, s0, v7
	v_mul_hi_u32 v9, s0, v4
	v_mul_lo_u32 v11, s1, v4
	v_mul_lo_u32 v10, s0, v4
	v_add_u32_e32 v8, v9, v8
	v_add_u32_e32 v8, v8, v11
	v_mul_hi_u32 v9, v4, v10
	v_mul_lo_u32 v11, v4, v8
	v_mul_hi_u32 v13, v4, v8
	v_mul_hi_u32 v12, v7, v10
	v_mul_lo_u32 v10, v7, v10
	v_mul_hi_u32 v14, v7, v8
	v_add_co_u32_e32 v9, vcc, v9, v11
	v_addc_co_u32_e32 v11, vcc, 0, v13, vcc
	v_mul_lo_u32 v8, v7, v8
	v_add_co_u32_e32 v9, vcc, v9, v10
	v_addc_co_u32_e32 v9, vcc, v11, v12, vcc
	v_addc_co_u32_e32 v10, vcc, 0, v14, vcc
	v_add_co_u32_e32 v8, vcc, v9, v8
	v_addc_co_u32_e32 v9, vcc, 0, v10, vcc
	v_add_co_u32_e32 v4, vcc, v4, v8
	v_addc_co_u32_e32 v7, vcc, v7, v9, vcc
	v_mul_lo_u32 v8, s0, v7
	v_mul_hi_u32 v9, s0, v4
	v_mul_lo_u32 v10, s1, v4
	v_mul_lo_u32 v11, s0, v4
	v_add_u32_e32 v8, v9, v8
	v_add_u32_e32 v8, v8, v10
	v_mul_lo_u32 v12, v4, v8
	v_mul_hi_u32 v13, v4, v11
	v_mul_hi_u32 v14, v4, v8
	;; [unrolled: 1-line block ×3, first 2 shown]
	v_mul_lo_u32 v11, v7, v11
	v_mul_hi_u32 v9, v7, v8
	v_add_co_u32_e32 v12, vcc, v13, v12
	v_addc_co_u32_e32 v13, vcc, 0, v14, vcc
	v_mul_lo_u32 v8, v7, v8
	v_add_co_u32_e32 v11, vcc, v12, v11
	v_addc_co_u32_e32 v10, vcc, v13, v10, vcc
	v_addc_co_u32_e32 v9, vcc, 0, v9, vcc
	v_add_co_u32_e32 v8, vcc, v10, v8
	v_addc_co_u32_e32 v9, vcc, 0, v9, vcc
	v_add_co_u32_e32 v4, vcc, v4, v8
	v_addc_co_u32_e32 v9, vcc, v7, v9, vcc
	v_mad_u64_u32 v[7:8], s[0:1], v5, v9, 0
	v_mul_hi_u32 v10, v5, v4
	v_add_co_u32_e32 v11, vcc, v10, v7
	v_addc_co_u32_e32 v12, vcc, 0, v8, vcc
	v_mad_u64_u32 v[7:8], s[0:1], v6, v4, 0
	v_mad_u64_u32 v[9:10], s[0:1], v6, v9, 0
	v_add_co_u32_e32 v4, vcc, v11, v7
	v_addc_co_u32_e32 v4, vcc, v12, v8, vcc
	v_addc_co_u32_e32 v7, vcc, 0, v10, vcc
	v_add_co_u32_e32 v4, vcc, v4, v9
	v_addc_co_u32_e32 v9, vcc, 0, v7, vcc
	v_mul_lo_u32 v10, s19, v4
	v_mul_lo_u32 v11, s18, v9
	v_mad_u64_u32 v[7:8], s[0:1], s18, v4, 0
	v_add3_u32 v8, v8, v11, v10
	v_sub_u32_e32 v10, v6, v8
	v_mov_b32_e32 v11, s19
	v_sub_co_u32_e32 v7, vcc, v5, v7
	v_subb_co_u32_e64 v10, s[0:1], v10, v11, vcc
	v_subrev_co_u32_e64 v11, s[0:1], s18, v7
	v_subbrev_co_u32_e64 v10, s[0:1], 0, v10, s[0:1]
	v_cmp_le_u32_e64 s[0:1], s19, v10
	v_cndmask_b32_e64 v12, 0, -1, s[0:1]
	v_cmp_le_u32_e64 s[0:1], s18, v11
	v_cndmask_b32_e64 v11, 0, -1, s[0:1]
	v_cmp_eq_u32_e64 s[0:1], s19, v10
	v_cndmask_b32_e64 v10, v12, v11, s[0:1]
	v_add_co_u32_e64 v11, s[0:1], 2, v4
	v_addc_co_u32_e64 v12, s[0:1], 0, v9, s[0:1]
	v_add_co_u32_e64 v13, s[0:1], 1, v4
	v_addc_co_u32_e64 v14, s[0:1], 0, v9, s[0:1]
	v_subb_co_u32_e32 v8, vcc, v6, v8, vcc
	v_cmp_ne_u32_e64 s[0:1], 0, v10
	v_cmp_le_u32_e32 vcc, s19, v8
	v_cndmask_b32_e64 v10, v14, v12, s[0:1]
	v_cndmask_b32_e64 v12, 0, -1, vcc
	v_cmp_le_u32_e32 vcc, s18, v7
	v_cndmask_b32_e64 v7, 0, -1, vcc
	v_cmp_eq_u32_e32 vcc, s19, v8
	v_cndmask_b32_e32 v7, v12, v7, vcc
	v_cmp_ne_u32_e32 vcc, 0, v7
	v_cndmask_b32_e64 v7, v13, v11, s[0:1]
	v_cndmask_b32_e32 v8, v9, v10, vcc
	v_cndmask_b32_e32 v7, v4, v7, vcc
.LBB0_4:                                ;   in Loop: Header=BB0_2 Depth=1
	s_andn2_saveexec_b64 s[0:1], s[20:21]
	s_cbranch_execz .LBB0_6
; %bb.5:                                ;   in Loop: Header=BB0_2 Depth=1
	v_cvt_f32_u32_e32 v4, s18
	s_sub_i32 s20, 0, s18
	v_rcp_iflag_f32_e32 v4, v4
	v_mul_f32_e32 v4, 0x4f7ffffe, v4
	v_cvt_u32_f32_e32 v4, v4
	v_mul_lo_u32 v7, s20, v4
	v_mul_hi_u32 v7, v4, v7
	v_add_u32_e32 v4, v4, v7
	v_mul_hi_u32 v4, v5, v4
	v_mul_lo_u32 v7, v4, s18
	v_add_u32_e32 v8, 1, v4
	v_sub_u32_e32 v7, v5, v7
	v_subrev_u32_e32 v9, s18, v7
	v_cmp_le_u32_e32 vcc, s18, v7
	v_cndmask_b32_e32 v7, v7, v9, vcc
	v_cndmask_b32_e32 v4, v4, v8, vcc
	v_add_u32_e32 v8, 1, v4
	v_cmp_le_u32_e32 vcc, s18, v7
	v_cndmask_b32_e32 v7, v4, v8, vcc
	v_mov_b32_e32 v8, v3
.LBB0_6:                                ;   in Loop: Header=BB0_2 Depth=1
	s_or_b64 exec, exec, s[0:1]
	v_mul_lo_u32 v4, v8, s18
	v_mul_lo_u32 v11, v7, s19
	v_mad_u64_u32 v[9:10], s[0:1], v7, s18, 0
	s_load_dwordx2 s[0:1], s[6:7], 0x0
	s_add_u32 s16, s16, 1
	v_add3_u32 v4, v10, v11, v4
	v_sub_co_u32_e32 v5, vcc, v5, v9
	v_subb_co_u32_e32 v4, vcc, v6, v4, vcc
	s_waitcnt lgkmcnt(0)
	v_mul_lo_u32 v4, s0, v4
	v_mul_lo_u32 v6, s1, v5
	v_mad_u64_u32 v[1:2], s[0:1], s0, v5, v[1:2]
	s_addc_u32 s17, s17, 0
	s_add_u32 s6, s6, 8
	v_add3_u32 v2, v6, v2, v4
	v_mov_b32_e32 v4, s10
	v_mov_b32_e32 v5, s11
	s_addc_u32 s7, s7, 0
	v_cmp_ge_u64_e32 vcc, s[16:17], v[4:5]
	s_add_u32 s14, s14, 8
	s_addc_u32 s15, s15, 0
	s_cbranch_vccnz .LBB0_9
; %bb.7:                                ;   in Loop: Header=BB0_2 Depth=1
	v_mov_b32_e32 v5, v7
	v_mov_b32_e32 v6, v8
	s_branch .LBB0_2
.LBB0_8:
	v_mov_b32_e32 v8, v6
	v_mov_b32_e32 v7, v5
.LBB0_9:
	s_lshl_b64 s[0:1], s[10:11], 3
	s_add_u32 s0, s12, s0
	s_addc_u32 s1, s13, s1
	s_load_dwordx2 s[6:7], s[0:1], 0x0
	s_load_dwordx2 s[10:11], s[4:5], 0x20
                                        ; implicit-def: $vgpr16_vgpr17
                                        ; implicit-def: $vgpr20_vgpr21
                                        ; implicit-def: $vgpr32_vgpr33
                                        ; implicit-def: $vgpr24_vgpr25
                                        ; implicit-def: $vgpr28_vgpr29
	s_waitcnt lgkmcnt(0)
	v_mad_u64_u32 v[1:2], s[0:1], s6, v7, v[1:2]
	v_mul_lo_u32 v3, s6, v8
	v_mul_lo_u32 v4, s7, v7
	s_mov_b32 s0, 0x11bb4a5
	v_mul_hi_u32 v5, v0, s0
	v_cmp_gt_u64_e64 s[0:1], s[10:11], v[7:8]
	v_add3_u32 v2, v4, v2, v3
	v_lshlrev_b64 v[42:43], 4, v[1:2]
	v_mul_u32_u24_e32 v3, 0xe7, v5
	v_sub_u32_e32 v40, v0, v3
                                        ; implicit-def: $vgpr2_vgpr3
	s_and_saveexec_b64 s[4:5], s[0:1]
	s_cbranch_execz .LBB0_11
; %bb.10:
	v_mov_b32_e32 v41, 0
	v_mov_b32_e32 v0, s3
	v_add_co_u32_e32 v2, vcc, s2, v42
	v_addc_co_u32_e32 v3, vcc, v0, v43, vcc
	v_lshlrev_b64 v[0:1], 4, v[40:41]
	s_movk_i32 s6, 0x2000
	v_add_co_u32_e32 v4, vcc, v2, v0
	v_addc_co_u32_e32 v5, vcc, v3, v1, vcc
	v_add_co_u32_e32 v6, vcc, s6, v4
	v_addc_co_u32_e32 v7, vcc, 0, v5, vcc
	s_movk_i32 s6, 0x3000
	v_add_co_u32_e32 v8, vcc, s6, v4
	v_addc_co_u32_e32 v9, vcc, 0, v5, vcc
	s_movk_i32 s6, 0x1000
	v_add_co_u32_e32 v10, vcc, s6, v4
	v_addc_co_u32_e32 v11, vcc, 0, v5, vcc
	v_add_co_u32_e32 v12, vcc, 0x4000, v4
	v_addc_co_u32_e32 v13, vcc, 0, v5, vcc
	global_load_dwordx4 v[26:29], v[4:5], off
	global_load_dwordx4 v[22:25], v[4:5], off offset:3696
	global_load_dwordx4 v[0:3], v[6:7], off offset:2896
	;; [unrolled: 1-line block ×5, first 2 shown]
.LBB0_11:
	s_or_b64 exec, exec, s[4:5]
	s_waitcnt vmcnt(3)
	v_add_f64 v[6:7], v[26:27], -v[0:1]
	s_waitcnt vmcnt(2)
	v_add_f64 v[10:11], v[22:23], -v[30:31]
	;; [unrolled: 2-line block ×3, first 2 shown]
	s_movk_i32 s4, 0xc6
	v_lshl_add_u32 v34, v40, 4, 0
	v_add_u32_e32 v41, 0xe7, v40
	v_cmp_gt_u32_e32 vcc, s4, v40
	v_lshl_add_u32 v30, v41, 4, 0
	v_fma_f64 v[4:5], v[26:27], 2.0, -v[6:7]
	v_fma_f64 v[8:9], v[22:23], 2.0, -v[10:11]
	;; [unrolled: 1-line block ×3, first 2 shown]
	v_add_u32_e32 v31, 0x1ce0, v34
	v_lshlrev_b32_e32 v35, 3, v40
                                        ; implicit-def: $vgpr26_vgpr27
	ds_write_b128 v34, v[4:7]
	ds_write_b128 v30, v[8:11]
	ds_write_b128 v34, v[12:15] offset:7392
	s_waitcnt lgkmcnt(0)
	s_barrier
	s_and_saveexec_b64 s[4:5], vcc
	s_cbranch_execz .LBB0_13
; %bb.12:
	v_sub_u32_e32 v0, v34, v35
	v_add_u32_e32 v1, 0xc00, v0
	ds_read2_b64 v[8:11], v1 offset0:12 offset1:210
	v_add_u32_e32 v1, 0x1800, v0
	ds_read2_b64 v[4:7], v0 offset1:198
	ds_read2_b64 v[12:15], v1 offset0:24 offset1:222
	ds_read_b64 v[26:27], v0 offset:9504
.LBB0_13:
	s_or_b64 exec, exec, s[4:5]
	v_add_f64 v[2:3], v[28:29], -v[2:3]
	v_add_f64 v[18:19], v[24:25], -v[32:33]
	;; [unrolled: 1-line block ×3, first 2 shown]
	s_waitcnt lgkmcnt(0)
	s_barrier
	v_fma_f64 v[0:1], v[28:29], 2.0, -v[2:3]
	v_fma_f64 v[16:17], v[24:25], 2.0, -v[18:19]
	;; [unrolled: 1-line block ×3, first 2 shown]
	ds_write_b128 v34, v[0:3]
	ds_write_b128 v30, v[16:19]
	;; [unrolled: 1-line block ×3, first 2 shown]
	s_waitcnt lgkmcnt(0)
	s_barrier
	s_waitcnt lgkmcnt(0)
                                        ; implicit-def: $vgpr30_vgpr31
	s_and_saveexec_b64 s[4:5], vcc
	s_cbranch_execz .LBB0_15
; %bb.14:
	v_sub_u32_e32 v24, v34, v35
	v_add_u32_e32 v16, 0xc00, v24
	v_add_u32_e32 v20, 0x1800, v24
	ds_read2_b64 v[0:3], v24 offset1:198
	ds_read2_b64 v[16:19], v16 offset0:12 offset1:210
	ds_read2_b64 v[20:23], v20 offset0:24 offset1:222
	ds_read_b64 v[30:31], v24 offset:9504
.LBB0_15:
	s_or_b64 exec, exec, s[4:5]
	v_and_b32_e32 v58, 1, v40
	v_mul_u32_u24_e32 v24, 6, v58
	v_lshlrev_b32_e32 v24, 4, v24
	global_load_dwordx4 v[36:39], v24, s[8:9] offset:16
	global_load_dwordx4 v[32:35], v24, s[8:9] offset:32
	;; [unrolled: 1-line block ×3, first 2 shown]
	global_load_dwordx4 v[48:51], v24, s[8:9]
	global_load_dwordx4 v[52:55], v24, s[8:9] offset:64
	global_load_dwordx4 v[59:62], v24, s[8:9] offset:48
	s_mov_b32 s12, 0x37e14327
	s_mov_b32 s14, 0xb247c609
	;; [unrolled: 1-line block ×12, first 2 shown]
	s_waitcnt vmcnt(0) lgkmcnt(0)
	s_barrier
	v_mul_f64 v[24:25], v[16:17], v[38:39]
	v_mul_f64 v[38:39], v[8:9], v[38:39]
	;; [unrolled: 1-line block ×11, first 2 shown]
	v_fma_f64 v[24:25], v[8:9], v[36:37], v[24:25]
	v_fma_f64 v[26:27], v[26:27], v[44:45], v[28:29]
	;; [unrolled: 1-line block ×4, first 2 shown]
	v_mul_f64 v[8:9], v[6:7], v[50:51]
	v_fma_f64 v[6:7], v[10:11], v[32:33], v[56:57]
	v_fma_f64 v[10:11], v[18:19], v[32:33], -v[34:35]
	v_fma_f64 v[12:13], v[12:13], v[59:60], v[67:68]
	v_fma_f64 v[18:19], v[20:21], v[59:60], -v[61:62]
	v_fma_f64 v[20:21], v[30:31], v[44:45], -v[46:47]
	v_add_f64 v[32:33], v[28:29], v[26:27]
	v_add_f64 v[34:35], v[24:25], v[14:15]
	v_fma_f64 v[30:31], v[2:3], v[48:49], -v[8:9]
	v_fma_f64 v[2:3], v[16:17], v[36:37], -v[38:39]
	;; [unrolled: 1-line block ×3, first 2 shown]
	v_add_f64 v[8:9], v[6:7], v[12:13]
	v_add_f64 v[38:39], v[18:19], -v[10:11]
	v_lshrrev_b32_e32 v59, 1, v40
	v_add_f64 v[44:45], v[34:35], v[32:33]
	v_add_f64 v[22:23], v[30:31], -v[20:21]
	v_add_f64 v[36:37], v[2:3], -v[16:17]
	;; [unrolled: 1-line block ×4, first 2 shown]
	v_add_f64 v[50:51], v[8:9], v[44:45]
	v_add_f64 v[44:45], v[22:23], -v[38:39]
	v_add_f64 v[8:9], v[38:39], v[36:37]
	v_add_f64 v[52:53], v[38:39], -v[36:37]
	v_mul_f64 v[48:49], v[46:47], s[12:13]
	v_add_f64 v[4:5], v[4:5], v[50:51]
	v_mul_f64 v[44:45], v[44:45], s[14:15]
	v_add_f64 v[56:57], v[8:9], v[22:23]
	v_fma_f64 v[8:9], v[54:55], s[4:5], v[48:49]
	v_fma_f64 v[38:39], v[50:51], s[16:17], v[4:5]
	;; [unrolled: 1-line block ×3, first 2 shown]
	v_add_f64 v[46:47], v[8:9], v[38:39]
	v_fma_f64 v[50:51], v[56:57], s[10:11], v[50:51]
	v_add_f64 v[8:9], v[46:47], -v[50:51]
	s_and_saveexec_b64 s[18:19], vcc
	s_cbranch_execz .LBB0_17
; %bb.16:
	v_add_f64 v[32:33], v[34:35], -v[32:33]
	v_add_f64 v[22:23], v[36:37], -v[22:23]
	v_mul_f64 v[34:35], v[54:55], s[4:5]
	v_mul_f64 v[52:53], v[52:53], s[6:7]
	s_mov_b32 s21, 0xbfe77f67
	s_mov_b32 s20, 0x5476071b
	;; [unrolled: 1-line block ×4, first 2 shown]
	v_fma_f64 v[48:49], v[32:33], s[20:21], -v[48:49]
	v_fma_f64 v[44:45], v[22:23], s[22:23], -v[44:45]
	s_mov_b32 s23, 0xbfebfeb5
	s_mov_b32 s21, 0x3fe77f67
	v_mul_f64 v[36:37], v[56:57], s[10:11]
	v_fma_f64 v[22:23], v[22:23], s[22:23], -v[52:53]
	v_fma_f64 v[32:33], v[32:33], s[20:21], -v[34:35]
	v_add_f64 v[34:35], v[48:49], v[38:39]
	v_add_f64 v[44:45], v[36:37], v[44:45]
	;; [unrolled: 1-line block ×5, first 2 shown]
	v_add_f64 v[38:39], v[34:35], -v[44:45]
	v_add_f64 v[34:35], v[44:45], v[34:35]
	v_add_f64 v[44:45], v[32:33], -v[22:23]
	v_add_f64 v[22:23], v[22:23], v[32:33]
	v_mul_u32_u24_e32 v32, 14, v59
	v_or_b32_e32 v32, v32, v58
	v_lshl_add_u32 v32, v32, 3, 0
	ds_write2_b64 v32, v[4:5], v[36:37] offset1:2
	ds_write2_b64 v32, v[34:35], v[44:45] offset0:4 offset1:6
	ds_write2_b64 v32, v[22:23], v[38:39] offset0:8 offset1:10
	ds_write_b64 v32, v[8:9] offset:96
.LBB0_17:
	s_or_b64 exec, exec, s[18:19]
	v_add_f64 v[20:21], v[30:31], v[20:21]
	v_add_f64 v[30:31], v[2:3], v[16:17]
	v_add_f64 v[22:23], v[28:29], -v[26:27]
	v_add_f64 v[2:3], v[10:11], v[18:19]
	v_add_f64 v[4:5], v[12:13], -v[6:7]
	v_add_f64 v[32:33], v[24:25], -v[14:15]
	v_lshl_add_u32 v60, v40, 3, 0
	v_add_u32_e32 v46, 0xe00, v60
	v_add_u32_e32 v47, 0x1c80, v60
	v_add_f64 v[6:7], v[30:31], v[20:21]
	s_waitcnt lgkmcnt(0)
	v_add_f64 v[10:11], v[20:21], -v[2:3]
	v_add_f64 v[12:13], v[22:23], -v[4:5]
	;; [unrolled: 1-line block ×4, first 2 shown]
	s_barrier
	v_add_f64 v[6:7], v[2:3], v[6:7]
	v_add_f64 v[2:3], v[4:5], v[32:33]
	v_mul_f64 v[34:35], v[10:11], s[12:13]
	v_mul_f64 v[18:19], v[12:13], s[14:15]
	ds_read2_b64 v[14:17], v47 offset0:12 offset1:243
	v_add_f64 v[10:11], v[0:1], v[6:7]
	v_add_f64 v[44:45], v[2:3], v[22:23]
	v_fma_f64 v[0:1], v[38:39], s[4:5], v[34:35]
	v_fma_f64 v[2:3], v[36:37], s[6:7], v[18:19]
	;; [unrolled: 1-line block ×3, first 2 shown]
	ds_read2_b64 v[4:7], v46 offset0:14 offset1:245
	v_fma_f64 v[26:27], v[44:45], s[10:11], v[2:3]
	v_add_f64 v[28:29], v[0:1], v[24:25]
	ds_read2_b64 v[0:3], v60 offset1:231
	s_waitcnt lgkmcnt(0)
	s_barrier
	v_add_f64 v[12:13], v[26:27], v[28:29]
	s_and_saveexec_b64 s[12:13], vcc
	s_cbranch_execz .LBB0_19
; %bb.18:
	v_mul_f64 v[38:39], v[38:39], s[4:5]
	v_add_f64 v[20:21], v[30:31], -v[20:21]
	v_mul_f64 v[36:37], v[36:37], s[6:7]
	v_add_f64 v[22:23], v[32:33], -v[22:23]
	s_mov_b32 s5, 0x3fe77f67
	s_mov_b32 s4, 0x5476071b
	v_mul_f64 v[30:31], v[44:45], s[10:11]
	v_fma_f64 v[32:33], v[20:21], s[4:5], -v[38:39]
	s_mov_b32 s5, 0xbfe77f67
	v_fma_f64 v[20:21], v[20:21], s[4:5], -v[34:35]
	s_mov_b32 s5, 0xbfebfeb5
	s_mov_b32 s4, 0x429ad128
	v_fma_f64 v[34:35], v[22:23], s[4:5], -v[36:37]
	s_mov_b32 s5, 0x3febfeb5
	v_fma_f64 v[18:19], v[22:23], s[4:5], -v[18:19]
	v_add_f64 v[22:23], v[32:33], v[24:25]
	v_add_f64 v[20:21], v[20:21], v[24:25]
	v_add_f64 v[24:25], v[28:29], -v[26:27]
	v_add_f64 v[32:33], v[30:31], v[34:35]
	v_add_f64 v[18:19], v[30:31], v[18:19]
	;; [unrolled: 1-line block ×3, first 2 shown]
	v_add_f64 v[22:23], v[22:23], -v[32:33]
	v_add_f64 v[28:29], v[20:21], -v[18:19]
	v_add_f64 v[18:19], v[18:19], v[20:21]
	v_mul_u32_u24_e32 v20, 14, v59
	v_or_b32_e32 v20, v20, v58
	v_lshl_add_u32 v20, v20, 3, 0
	ds_write2_b64 v20, v[10:11], v[24:25] offset1:2
	ds_write2_b64 v20, v[28:29], v[26:27] offset0:4 offset1:6
	ds_write2_b64 v20, v[22:23], v[18:19] offset0:8 offset1:10
	ds_write_b64 v20, v[12:13] offset:96
.LBB0_19:
	s_or_b64 exec, exec, s[12:13]
	v_lshrrev_b16_e32 v50, 1, v40
	v_and_b32_e32 v10, 0x7f, v50
	v_mul_lo_u16_e32 v10, 0x93, v10
	v_lshrrev_b16_e32 v11, 1, v41
	v_lshrrev_b16_e32 v59, 10, v10
	v_mul_u32_u24_e32 v11, 0x4925, v11
	v_mul_lo_u16_e32 v10, 14, v59
	v_lshrrev_b32_e32 v70, 17, v11
	v_sub_u16_e32 v69, v40, v10
	v_mov_b32_e32 v10, 5
	v_mul_lo_u16_e32 v11, 14, v70
	v_lshlrev_b32_sdwa v10, v10, v69 dst_sel:DWORD dst_unused:UNUSED_PAD src0_sel:DWORD src1_sel:BYTE_0
	v_sub_u16_e32 v71, v41, v11
	s_waitcnt lgkmcnt(0)
	s_barrier
	v_lshlrev_b32_e32 v11, 5, v71
	global_load_dwordx4 v[18:21], v10, s[8:9] offset:192
	global_load_dwordx4 v[22:25], v10, s[8:9] offset:208
	;; [unrolled: 1-line block ×4, first 2 shown]
	ds_read2_b64 v[61:64], v46 offset0:14 offset1:245
	ds_read2_b64 v[28:31], v60 offset1:231
	ds_read2_b64 v[65:68], v47 offset0:12 offset1:243
	s_mov_b32 s4, 0xe8584caa
	s_mov_b32 s5, 0xbfebb67a
	;; [unrolled: 1-line block ×4, first 2 shown]
	v_mov_b32_e32 v72, 3
	s_movk_i32 s10, 0x7e
	v_cmp_gt_u32_e32 vcc, s10, v40
	s_waitcnt vmcnt(0) lgkmcnt(0)
	s_barrier
	v_mul_f64 v[10:11], v[61:62], v[20:21]
	v_mul_f64 v[26:27], v[65:66], v[24:25]
	;; [unrolled: 1-line block ×8, first 2 shown]
	v_fma_f64 v[34:35], v[4:5], v[18:19], v[10:11]
	v_fma_f64 v[36:37], v[14:15], v[22:23], v[26:27]
	;; [unrolled: 1-line block ×4, first 2 shown]
	v_fma_f64 v[46:47], v[63:64], v[51:52], -v[44:45]
	v_fma_f64 v[44:45], v[67:68], v[55:56], -v[53:54]
	;; [unrolled: 1-line block ×4, first 2 shown]
	v_add_f64 v[16:17], v[0:1], v[34:35]
	v_add_f64 v[4:5], v[34:35], v[36:37]
	;; [unrolled: 1-line block ×4, first 2 shown]
	v_mul_u32_u24_e32 v18, 0x150, v70
	v_add_f64 v[22:23], v[46:47], -v[44:45]
	v_mul_u32_u24_e32 v24, 0x150, v59
	v_add_f64 v[20:21], v[48:49], -v[38:39]
	v_lshlrev_b32_sdwa v25, v72, v69 dst_sel:DWORD dst_unused:UNUSED_PAD src0_sel:DWORD src1_sel:BYTE_0
	v_fma_f64 v[0:1], v[4:5], -0.5, v[0:1]
	v_lshlrev_b32_e32 v4, 3, v71
	v_fma_f64 v[2:3], v[6:7], -0.5, v[2:3]
	v_add3_u32 v51, 0, v18, v4
	v_add_f64 v[18:19], v[10:11], v[32:33]
	v_add_f64 v[4:5], v[16:17], v[36:37]
	v_add3_u32 v52, 0, v24, v25
                                        ; implicit-def: $vgpr56_vgpr57
                                        ; implicit-def: $vgpr26_vgpr27
	v_fma_f64 v[6:7], v[20:21], s[4:5], v[0:1]
	v_fma_f64 v[16:17], v[20:21], s[6:7], v[0:1]
	;; [unrolled: 1-line block ×4, first 2 shown]
	ds_write2_b64 v52, v[4:5], v[6:7] offset1:14
	ds_write_b64 v52, v[16:17] offset:224
	ds_write2_b64 v51, v[18:19], v[20:21] offset1:14
	ds_write_b64 v51, v[22:23] offset:224
	s_waitcnt lgkmcnt(0)
	s_barrier
	s_and_saveexec_b64 s[10:11], vcc
	s_cbranch_execz .LBB0_21
; %bb.20:
	v_add_u32_e32 v0, 0x400, v60
	ds_read2_b64 v[16:19], v0 offset0:124 offset1:250
	v_add_u32_e32 v0, 0xc00, v60
	ds_read2_b64 v[20:23], v0 offset0:120 offset1:246
	;; [unrolled: 2-line block ×3, first 2 shown]
	v_add_u32_e32 v0, 0x1c00, v60
	ds_read2_b64 v[4:7], v60 offset1:126
	ds_read2_b64 v[24:27], v0 offset0:112 offset1:238
	ds_read_b64 v[56:57], v60 offset:10080
.LBB0_21:
	s_or_b64 exec, exec, s[10:11]
	v_add_f64 v[0:1], v[48:49], v[38:39]
	v_add_f64 v[2:3], v[46:47], v[44:45]
	;; [unrolled: 1-line block ×3, first 2 shown]
	v_add_f64 v[34:35], v[34:35], -v[36:37]
	v_add_f64 v[36:37], v[30:31], v[46:47]
	v_add_f64 v[14:15], v[14:15], -v[32:33]
	s_waitcnt lgkmcnt(0)
	s_barrier
	v_fma_f64 v[28:29], v[0:1], -0.5, v[28:29]
	v_fma_f64 v[46:47], v[2:3], -0.5, v[30:31]
	v_add_f64 v[0:1], v[48:49], v[38:39]
	v_add_f64 v[30:31], v[36:37], v[44:45]
                                        ; implicit-def: $vgpr58_vgpr59
                                        ; implicit-def: $vgpr38_vgpr39
	v_fma_f64 v[2:3], v[34:35], s[6:7], v[28:29]
	v_fma_f64 v[28:29], v[34:35], s[4:5], v[28:29]
	;; [unrolled: 1-line block ×4, first 2 shown]
	ds_write2_b64 v52, v[0:1], v[2:3] offset1:14
	ds_write_b64 v52, v[28:29] offset:224
	ds_write2_b64 v51, v[30:31], v[32:33] offset1:14
	ds_write_b64 v51, v[34:35] offset:224
	s_waitcnt lgkmcnt(0)
	s_barrier
	s_and_saveexec_b64 s[4:5], vcc
	s_cbranch_execz .LBB0_23
; %bb.22:
	v_add_u32_e32 v12, 0x400, v60
	ds_read2_b64 v[28:31], v12 offset0:124 offset1:250
	v_add_u32_e32 v12, 0xc00, v60
	ds_read2_b64 v[32:35], v12 offset0:120 offset1:246
	v_add_u32_e32 v12, 0x1400, v60
	v_add_u32_e32 v36, 0x1c00, v60
	ds_read2_b64 v[0:3], v60 offset1:126
	ds_read2_b64 v[12:15], v12 offset0:116 offset1:242
	ds_read2_b64 v[36:39], v36 offset0:112 offset1:238
	ds_read_b64 v[58:59], v60 offset:10080
.LBB0_23:
	s_or_b64 exec, exec, s[4:5]
	v_and_b32_e32 v44, 0x7f, v50
	v_mul_lo_u16_e32 v44, 49, v44
	v_lshrrev_b16_e32 v61, 10, v44
	v_mul_lo_u16_e32 v44, 42, v61
	v_sub_u16_e32 v62, v40, v44
	v_mov_b32_e32 v44, 10
	v_mul_u32_u24_sdwa v44, v62, v44 dst_sel:DWORD dst_unused:UNUSED_PAD src0_sel:BYTE_0 src1_sel:DWORD
	v_lshlrev_b32_e32 v48, 4, v44
	global_load_dwordx4 v[44:47], v48, s[8:9] offset:656
	global_load_dwordx4 v[52:55], v48, s[8:9] offset:672
	;; [unrolled: 1-line block ×10, first 2 shown]
	s_waitcnt vmcnt(0) lgkmcnt(0)
	s_barrier
	v_mul_f64 v[48:49], v[28:29], v[46:47]
	v_mul_f64 v[46:47], v[16:17], v[46:47]
	;; [unrolled: 1-line block ×20, first 2 shown]
	v_fma_f64 v[48:49], v[16:17], v[44:45], v[48:49]
	v_fma_f64 v[50:51], v[28:29], v[44:45], -v[46:47]
	v_fma_f64 v[44:45], v[18:19], v[52:53], v[95:96]
	v_fma_f64 v[46:47], v[30:31], v[52:53], -v[54:55]
	v_fma_f64 v[28:29], v[20:21], v[63:64], v[97:98]
	v_fma_f64 v[32:33], v[32:33], v[63:64], -v[65:66]
	v_fma_f64 v[16:17], v[22:23], v[67:68], v[99:100]
	v_fma_f64 v[20:21], v[34:35], v[67:68], -v[69:70]
	v_fma_f64 v[18:19], v[8:9], v[71:72], v[101:102]
	v_fma_f64 v[22:23], v[12:13], v[71:72], -v[73:74]
	v_fma_f64 v[30:31], v[10:11], v[75:76], v[103:104]
	v_fma_f64 v[14:15], v[14:15], v[75:76], -v[77:78]
	v_fma_f64 v[24:25], v[24:25], v[79:80], v[105:106]
	v_fma_f64 v[34:35], v[36:37], v[79:80], -v[81:82]
	v_fma_f64 v[52:53], v[26:27], v[83:84], v[107:108]
	v_fma_f64 v[36:37], v[38:39], v[83:84], -v[85:86]
	v_fma_f64 v[38:39], v[6:7], v[87:88], v[109:110]
	v_fma_f64 v[54:55], v[2:3], v[87:88], -v[89:90]
	v_fma_f64 v[56:57], v[56:57], v[91:92], v[111:112]
	v_fma_f64 v[26:27], v[58:59], v[91:92], -v[93:94]
	s_and_saveexec_b64 s[4:5], vcc
	s_cbranch_execz .LBB0_25
; %bb.24:
	v_add_f64 v[8:9], v[54:55], -v[26:27]
	s_mov_b32 s12, 0xf8bb580b
	v_add_f64 v[2:3], v[32:33], -v[14:15]
	v_add_f64 v[6:7], v[20:21], -v[22:23]
	;; [unrolled: 1-line block ×3, first 2 shown]
	s_mov_b32 s13, 0x3fe14ced
	s_mov_b32 s11, 0xbfe14ced
	;; [unrolled: 1-line block ×3, first 2 shown]
	v_add_f64 v[12:13], v[38:39], v[56:57]
	v_mul_f64 v[58:59], v[8:9], s[10:11]
	v_add_f64 v[65:66], v[50:51], -v[36:37]
	s_mov_b32 s25, 0x3fed1bb4
	s_mov_b32 s24, 0x8eee2c13
	s_mov_b32 s14, 0x8764f0ba
	v_mul_f64 v[63:64], v[2:3], s[24:25]
	s_mov_b32 s15, 0x3feaeb8c
	v_mul_f64 v[67:68], v[6:7], s[24:25]
	v_mul_f64 v[69:70], v[10:11], s[24:25]
	s_mov_b32 s25, 0xbfed1bb4
	v_fma_f64 v[71:72], v[12:13], s[14:15], v[58:59]
	v_add_f64 v[73:74], v[48:49], v[52:53]
	v_mul_f64 v[75:76], v[65:66], s[24:25]
	s_mov_b32 s6, 0x43842ef
	s_mov_b32 s16, 0xd9c712b6
	;; [unrolled: 1-line block ×4, first 2 shown]
	v_add_f64 v[79:80], v[44:45], v[24:25]
	v_add_f64 v[71:72], v[4:5], v[71:72]
	v_mul_f64 v[81:82], v[10:11], s[6:7]
	v_fma_f64 v[77:78], v[73:74], s[16:17], v[75:76]
	s_mov_b32 s18, 0x640f44db
	s_mov_b32 s28, 0xbb3a28a1
	;; [unrolled: 1-line block ×4, first 2 shown]
	v_add_f64 v[87:88], v[28:29], v[30:31]
	v_mul_f64 v[89:90], v[2:3], s[28:29]
	s_mov_b32 s20, 0x7f775887
	v_add_f64 v[71:72], v[77:78], v[71:72]
	v_fma_f64 v[77:78], v[79:80], s[18:19], v[81:82]
	s_mov_b32 s26, 0xfd768dbf
	s_mov_b32 s21, 0xbfe4f49e
	;; [unrolled: 1-line block ×3, first 2 shown]
	v_mul_f64 v[83:84], v[8:9], s[26:27]
	v_mul_f64 v[85:86], v[8:9], s[28:29]
	;; [unrolled: 1-line block ×4, first 2 shown]
	v_add_f64 v[71:72], v[77:78], v[71:72]
	v_fma_f64 v[77:78], v[87:88], s[20:21], v[89:90]
	s_mov_b32 s22, 0x9bcd5057
	s_mov_b32 s23, 0xbfeeb42a
	;; [unrolled: 1-line block ×4, first 2 shown]
	v_fma_f64 v[93:94], v[12:13], s[22:23], -v[83:84]
	v_fma_f64 v[83:84], v[12:13], s[22:23], v[83:84]
	v_fma_f64 v[95:96], v[12:13], s[20:21], -v[85:86]
	v_fma_f64 v[85:86], v[12:13], s[20:21], v[85:86]
	;; [unrolled: 2-line block ×4, first 2 shown]
	v_fma_f64 v[12:13], v[12:13], s[14:15], -v[58:59]
	v_add_f64 v[58:59], v[77:78], v[71:72]
	v_mul_f64 v[77:78], v[65:66], s[24:25]
	v_add_f64 v[71:72], v[4:5], v[93:94]
	v_add_f64 v[83:84], v[4:5], v[83:84]
	;; [unrolled: 1-line block ×7, first 2 shown]
	v_fma_f64 v[105:106], v[73:74], s[22:23], v[77:78]
	v_add_f64 v[99:100], v[4:5], v[99:100]
	v_add_f64 v[12:13], v[4:5], v[12:13]
	;; [unrolled: 1-line block ×3, first 2 shown]
	v_mul_f64 v[113:114], v[2:3], s[10:11]
	v_mul_f64 v[115:116], v[65:66], s[12:13]
	v_add_f64 v[101:102], v[16:17], v[18:19]
	v_mul_f64 v[119:120], v[6:7], s[28:29]
	v_add_f64 v[91:92], v[105:106], v[91:92]
	v_fma_f64 v[105:106], v[79:80], s[16:17], v[69:70]
	v_mul_f64 v[123:124], v[10:11], s[28:29]
	v_add_f64 v[4:5], v[4:5], v[48:49]
	v_mul_f64 v[109:110], v[10:11], s[24:25]
	v_fma_f64 v[121:122], v[73:74], s[14:15], -v[115:116]
	s_mov_b32 s25, 0x3fefac9e
	s_mov_b32 s24, s6
	v_mul_f64 v[95:96], v[65:66], s[28:29]
	v_add_f64 v[91:92], v[105:106], v[91:92]
	v_fma_f64 v[105:106], v[87:88], s[14:15], v[113:114]
	v_add_f64 v[4:5], v[4:5], v[44:45]
	v_mul_f64 v[65:66], v[65:66], s[24:25]
	v_add_f64 v[71:72], v[121:122], v[71:72]
	v_fma_f64 v[121:122], v[101:102], s[20:21], v[119:120]
	v_mul_f64 v[10:11], v[10:11], s[10:11]
	v_fma_f64 v[77:78], v[73:74], s[22:23], -v[77:78]
	v_mul_f64 v[103:104], v[6:7], s[26:27]
	v_add_f64 v[91:92], v[105:106], v[91:92]
	v_fma_f64 v[105:106], v[73:74], s[14:15], v[115:116]
	v_add_f64 v[4:5], v[4:5], v[28:29]
	v_fma_f64 v[115:116], v[79:80], s[20:21], -v[123:124]
	v_fma_f64 v[107:108], v[73:74], s[20:21], v[95:96]
	v_mul_f64 v[117:118], v[2:3], s[24:25]
	v_mul_f64 v[2:3], v[2:3], s[26:27]
	v_add_f64 v[77:78], v[77:78], v[97:98]
	v_add_f64 v[91:92], v[121:122], v[91:92]
	;; [unrolled: 1-line block ×3, first 2 shown]
	v_fma_f64 v[105:106], v[79:80], s[20:21], v[123:124]
	v_fma_f64 v[121:122], v[73:74], s[18:19], -v[65:66]
	v_fma_f64 v[65:66], v[73:74], s[18:19], v[65:66]
	v_add_f64 v[4:5], v[4:5], v[16:17]
	v_add_f64 v[71:72], v[115:116], v[71:72]
	v_fma_f64 v[115:116], v[87:88], s[16:17], -v[63:64]
	v_fma_f64 v[63:64], v[87:88], s[16:17], v[63:64]
	v_fma_f64 v[69:70], v[79:80], s[16:17], -v[69:70]
	v_add_f64 v[83:84], v[105:106], v[83:84]
	v_fma_f64 v[105:106], v[79:80], s[14:15], -v[10:11]
	v_add_f64 v[65:66], v[65:66], v[85:86]
	v_fma_f64 v[10:11], v[79:80], s[14:15], v[10:11]
	v_add_f64 v[4:5], v[4:5], v[18:19]
	v_add_f64 v[93:94], v[121:122], v[93:94]
	v_fma_f64 v[111:112], v[101:102], s[22:23], v[103:104]
	v_add_f64 v[8:9], v[107:108], v[8:9]
	v_add_f64 v[63:64], v[63:64], v[83:84]
	v_fma_f64 v[83:84], v[73:74], s[20:21], -v[95:96]
	v_fma_f64 v[107:108], v[79:80], s[22:23], v[109:110]
	v_add_f64 v[10:11], v[10:11], v[65:66]
	v_fma_f64 v[65:66], v[73:74], s[16:17], -v[75:76]
	v_add_f64 v[4:5], v[4:5], v[30:31]
	v_add_f64 v[85:86], v[105:106], v[93:94]
	v_fma_f64 v[93:94], v[79:80], s[22:23], -v[109:110]
	v_fma_f64 v[95:96], v[87:88], s[22:23], -v[2:3]
	v_add_f64 v[83:84], v[83:84], v[99:100]
	v_fma_f64 v[2:3], v[87:88], s[22:23], v[2:3]
	v_add_f64 v[69:70], v[69:70], v[77:78]
	v_fma_f64 v[73:74], v[87:88], s[14:15], -v[113:114]
	v_fma_f64 v[79:80], v[79:80], s[18:19], -v[81:82]
	v_add_f64 v[12:13], v[65:66], v[12:13]
	v_add_f64 v[4:5], v[4:5], v[24:25]
	;; [unrolled: 1-line block ×3, first 2 shown]
	v_fma_f64 v[107:108], v[87:88], s[18:19], v[117:118]
	v_add_f64 v[58:59], v[111:112], v[58:59]
	v_mul_f64 v[111:112], v[6:7], s[12:13]
	v_add_f64 v[75:76], v[93:94], v[83:84]
	v_fma_f64 v[77:78], v[87:88], s[18:19], -v[117:118]
	v_mul_f64 v[6:7], v[6:7], s[6:7]
	v_add_f64 v[2:3], v[2:3], v[10:11]
	v_add_f64 v[10:11], v[73:74], v[69:70]
	v_fma_f64 v[73:74], v[87:88], s[20:21], -v[89:90]
	v_add_f64 v[12:13], v[79:80], v[12:13]
	v_add_f64 v[4:5], v[4:5], v[52:53]
	v_add_f64 v[8:9], v[107:108], v[8:9]
	v_fma_f64 v[107:108], v[101:102], s[14:15], v[111:112]
	v_add_f64 v[71:72], v[115:116], v[71:72]
	v_add_f64 v[65:66], v[95:96], v[85:86]
	;; [unrolled: 1-line block ×3, first 2 shown]
	v_fma_f64 v[75:76], v[101:102], s[18:19], -v[6:7]
	v_fma_f64 v[6:7], v[101:102], s[18:19], v[6:7]
	v_fma_f64 v[77:78], v[101:102], s[16:17], v[67:68]
	v_fma_f64 v[67:68], v[101:102], s[16:17], -v[67:68]
	v_fma_f64 v[79:80], v[101:102], s[20:21], -v[119:120]
	;; [unrolled: 1-line block ×4, first 2 shown]
	v_add_f64 v[12:13], v[73:74], v[12:13]
	v_add_f64 v[4:5], v[4:5], v[56:57]
	v_add_f64 v[8:9], v[107:108], v[8:9]
	v_add_f64 v[6:7], v[6:7], v[63:64]
	v_add_f64 v[63:64], v[75:76], v[71:72]
	v_add_f64 v[65:66], v[67:68], v[65:66]
	v_add_f64 v[2:3], v[77:78], v[2:3]
	v_add_f64 v[10:11], v[79:80], v[10:11]
	v_add_f64 v[67:68], v[81:82], v[69:70]
	v_add_f64 v[12:13], v[83:84], v[12:13]
	v_mov_b32_e32 v71, 3
	v_lshlrev_b32_sdwa v71, v71, v62 dst_sel:DWORD dst_unused:UNUSED_PAD src0_sel:DWORD src1_sel:BYTE_0
	v_mul_u32_u24_e32 v72, 0xe70, v61
	v_add3_u32 v71, 0, v72, v71
	ds_write2_b64 v71, v[4:5], v[58:59] offset1:42
	ds_write2_b64 v71, v[8:9], v[91:92] offset0:84 offset1:126
	ds_write2_b64 v71, v[2:3], v[6:7] offset0:168 offset1:210
	v_add_u32_e32 v2, 0x400, v71
	ds_write2_b64 v2, v[63:64], v[65:66] offset0:124 offset1:166
	v_add_u32_e32 v2, 0x800, v71
	ds_write2_b64 v2, v[10:11], v[67:68] offset0:80 offset1:122
	ds_write_b64 v71, v[12:13] offset:3360
.LBB0_25:
	s_or_b64 exec, exec, s[4:5]
	v_add_u32_e32 v6, 0xe00, v60
	v_add_u32_e32 v10, 0x1c80, v60
	s_waitcnt lgkmcnt(0)
	s_barrier
	ds_read2_b64 v[2:5], v60 offset1:231
	ds_read2_b64 v[6:9], v6 offset0:14 offset1:245
	ds_read2_b64 v[10:13], v10 offset0:12 offset1:243
	s_waitcnt lgkmcnt(0)
	s_barrier
	s_and_saveexec_b64 s[4:5], vcc
	s_cbranch_execz .LBB0_27
; %bb.26:
	v_add_f64 v[58:59], v[0:1], v[54:55]
	v_add_f64 v[38:39], v[38:39], -v[56:57]
	v_add_f64 v[54:55], v[54:55], v[26:27]
	s_mov_b32 s12, 0x8764f0ba
	s_mov_b32 s16, 0xd9c712b6
	;; [unrolled: 1-line block ×4, first 2 shown]
	v_add_f64 v[48:49], v[48:49], -v[52:53]
	v_add_f64 v[56:57], v[58:59], v[50:51]
	v_add_f64 v[50:51], v[50:51], v[36:37]
	v_mul_f64 v[52:53], v[54:55], s[12:13]
	v_mul_f64 v[58:59], v[54:55], s[16:17]
	s_mov_b32 s6, 0xf8bb580b
	s_mov_b32 s14, 0x8eee2c13
	;; [unrolled: 1-line block ×4, first 2 shown]
	v_add_f64 v[56:57], v[56:57], v[46:47]
	s_mov_b32 s36, 0x9bcd5057
	s_mov_b32 s7, 0x3fe14ced
	;; [unrolled: 1-line block ×6, first 2 shown]
	v_mul_f64 v[63:64], v[54:55], s[22:23]
	v_add_f64 v[56:57], v[56:57], v[32:33]
	v_mul_f64 v[65:66], v[54:55], s[30:31]
	v_mul_f64 v[54:55], v[54:55], s[36:37]
	;; [unrolled: 1-line block ×4, first 2 shown]
	v_fma_f64 v[73:74], v[38:39], s[6:7], v[52:53]
	v_fma_f64 v[75:76], v[38:39], s[14:15], v[58:59]
	s_mov_b32 s20, 0x43842ef
	v_add_f64 v[56:57], v[56:57], v[20:21]
	s_mov_b32 s26, 0xbb3a28a1
	s_mov_b32 s34, 0xfd768dbf
	;; [unrolled: 1-line block ×7, first 2 shown]
	v_add_f64 v[56:57], v[56:57], v[22:23]
	s_mov_b32 s29, 0xbfe82f19
	s_mov_b32 s35, 0x3fd207e7
	;; [unrolled: 1-line block ×7, first 2 shown]
	v_add_f64 v[56:57], v[56:57], v[14:15]
	s_mov_b32 s38, s34
	v_mul_f64 v[71:72], v[50:51], s[36:37]
	v_fma_f64 v[52:53], v[38:39], s[10:11], v[52:53]
	v_fma_f64 v[58:59], v[38:39], s[18:19], v[58:59]
	;; [unrolled: 1-line block ×5, first 2 shown]
	v_add_f64 v[56:57], v[56:57], v[34:35]
	v_fma_f64 v[65:66], v[38:39], s[28:29], v[65:66]
	v_fma_f64 v[81:82], v[38:39], s[34:35], v[54:55]
	;; [unrolled: 1-line block ×4, first 2 shown]
	v_add_f64 v[73:74], v[0:1], v[73:74]
	v_fma_f64 v[67:68], v[48:49], s[18:19], v[67:68]
	v_add_f64 v[52:53], v[0:1], v[52:53]
	v_add_f64 v[36:37], v[56:57], v[36:37]
	;; [unrolled: 1-line block ×10, first 2 shown]
	v_fma_f64 v[36:37], v[48:49], s[26:27], v[69:70]
	v_add_f64 v[0:1], v[0:1], v[38:39]
	v_add_f64 v[38:39], v[54:55], v[73:74]
	v_fma_f64 v[54:55], v[48:49], s[28:29], v[69:70]
	v_mul_f64 v[69:70], v[50:51], s[22:23]
	v_add_f64 v[34:35], v[46:47], v[34:35]
	v_mul_f64 v[50:51], v[50:51], s[12:13]
	v_add_f64 v[52:53], v[67:68], v[52:53]
	v_add_f64 v[36:37], v[36:37], v[56:57]
	v_fma_f64 v[56:57], v[48:49], s[34:35], v[71:72]
	v_add_f64 v[24:25], v[44:45], -v[24:25]
	v_add_f64 v[54:55], v[54:55], v[58:59]
	v_fma_f64 v[58:59], v[48:49], s[24:25], v[69:70]
	v_mul_f64 v[44:45], v[34:35], s[22:23]
	v_fma_f64 v[67:68], v[48:49], s[20:21], v[69:70]
	v_fma_f64 v[69:70], v[48:49], s[10:11], v[50:51]
	;; [unrolled: 1-line block ×3, first 2 shown]
	v_add_f64 v[56:57], v[56:57], v[63:64]
	v_mul_f64 v[63:64], v[34:35], s[36:37]
	v_fma_f64 v[48:49], v[48:49], s[6:7], v[50:51]
	v_add_f64 v[14:15], v[32:33], v[14:15]
	v_fma_f64 v[50:51], v[24:25], s[20:21], v[44:45]
	v_add_f64 v[65:66], v[67:68], v[65:66]
	v_add_f64 v[67:68], v[69:70], v[79:80]
	v_mul_f64 v[69:70], v[34:35], s[16:17]
	v_mul_f64 v[32:33], v[34:35], s[12:13]
	v_fma_f64 v[71:72], v[24:25], s[38:39], v[63:64]
	v_fma_f64 v[63:64], v[24:25], s[34:35], v[63:64]
	v_mul_f64 v[34:35], v[34:35], s[30:31]
	v_add_f64 v[46:47], v[46:47], v[75:76]
	v_add_f64 v[58:59], v[58:59], v[77:78]
	v_fma_f64 v[44:45], v[24:25], s[24:25], v[44:45]
	v_add_f64 v[0:1], v[48:49], v[0:1]
	v_add_f64 v[38:39], v[50:51], v[38:39]
	v_fma_f64 v[48:49], v[24:25], s[18:19], v[69:70]
	v_add_f64 v[50:51], v[63:64], v[54:55]
	v_add_f64 v[28:29], v[28:29], -v[30:31]
	v_mul_f64 v[30:31], v[14:15], s[30:31]
	v_fma_f64 v[54:55], v[24:25], s[6:7], v[32:33]
	v_fma_f64 v[63:64], v[24:25], s[26:27], v[34:35]
	v_add_f64 v[44:45], v[44:45], v[52:53]
	v_fma_f64 v[52:53], v[24:25], s[14:15], v[69:70]
	v_add_f64 v[46:47], v[48:49], v[46:47]
	v_fma_f64 v[32:33], v[24:25], s[10:11], v[32:33]
	v_mul_f64 v[48:49], v[14:15], s[22:23]
	v_fma_f64 v[24:25], v[24:25], s[28:29], v[34:35]
	v_fma_f64 v[34:35], v[28:29], s[26:27], v[30:31]
	v_add_f64 v[54:55], v[54:55], v[58:59]
	v_add_f64 v[58:59], v[63:64], v[67:68]
	v_mul_f64 v[63:64], v[14:15], s[12:13]
	v_add_f64 v[36:37], v[71:72], v[36:37]
	v_add_f64 v[52:53], v[52:53], v[56:57]
	v_fma_f64 v[56:57], v[28:29], s[24:25], v[48:49]
	v_add_f64 v[0:1], v[24:25], v[0:1]
	v_add_f64 v[24:25], v[34:35], v[38:39]
	v_mul_f64 v[34:35], v[14:15], s[36:37]
	v_add_f64 v[20:21], v[20:21], v[22:23]
	v_fma_f64 v[38:39], v[28:29], s[6:7], v[63:64]
	v_mul_f64 v[14:15], v[14:15], s[16:17]
	v_fma_f64 v[30:31], v[28:29], s[28:29], v[30:31]
	v_add_f64 v[32:33], v[32:33], v[65:66]
	v_add_f64 v[22:23], v[56:57], v[36:37]
	v_fma_f64 v[36:37], v[28:29], s[20:21], v[48:49]
	v_fma_f64 v[48:49], v[28:29], s[34:35], v[34:35]
	v_add_f64 v[16:17], v[16:17], -v[18:19]
	v_mul_f64 v[18:19], v[20:21], s[36:37]
	v_fma_f64 v[34:35], v[28:29], s[38:39], v[34:35]
	v_add_f64 v[38:39], v[38:39], v[46:47]
	v_fma_f64 v[46:47], v[28:29], s[18:19], v[14:15]
	v_fma_f64 v[14:15], v[28:29], s[14:15], v[14:15]
	v_add_f64 v[30:31], v[30:31], v[44:45]
	v_fma_f64 v[44:45], v[28:29], s[10:11], v[63:64]
	v_add_f64 v[36:37], v[36:37], v[50:51]
	v_add_f64 v[28:29], v[48:49], v[54:55]
	v_fma_f64 v[48:49], v[16:17], s[34:35], v[18:19]
	v_add_f64 v[32:33], v[34:35], v[32:33]
	v_fma_f64 v[18:19], v[16:17], s[38:39], v[18:19]
	v_mul_f64 v[34:35], v[20:21], s[12:13]
	v_mul_f64 v[50:51], v[20:21], s[30:31]
	v_add_f64 v[0:1], v[14:15], v[0:1]
	v_mul_f64 v[14:15], v[20:21], s[16:17]
	v_mul_f64 v[20:21], v[20:21], s[22:23]
	v_add_f64 v[44:45], v[44:45], v[52:53]
	v_add_f64 v[24:25], v[48:49], v[24:25]
	;; [unrolled: 1-line block ×3, first 2 shown]
	v_fma_f64 v[30:31], v[16:17], s[10:11], v[34:35]
	v_fma_f64 v[34:35], v[16:17], s[6:7], v[34:35]
	;; [unrolled: 1-line block ×8, first 2 shown]
	v_add_f64 v[46:47], v[46:47], v[58:59]
	v_add_f64 v[20:21], v[30:31], v[22:23]
	;; [unrolled: 1-line block ×9, first 2 shown]
	v_mov_b32_e32 v17, 3
	v_mul_u32_u24_e32 v16, 0xe70, v61
	v_lshlrev_b32_sdwa v17, v17, v62 dst_sel:DWORD dst_unused:UNUSED_PAD src0_sel:DWORD src1_sel:BYTE_0
	v_add3_u32 v16, 0, v16, v17
	v_add_u32_e32 v17, 0x400, v16
	ds_write2_b64 v16, v[26:27], v[24:25] offset1:42
	ds_write2_b64 v16, v[20:21], v[30:31] offset0:84 offset1:126
	ds_write2_b64 v16, v[28:29], v[32:33] offset0:168 offset1:210
	;; [unrolled: 1-line block ×3, first 2 shown]
	v_add_u32_e32 v0, 0x800, v16
	ds_write2_b64 v0, v[34:35], v[22:23] offset0:80 offset1:122
	ds_write_b64 v16, v[18:19] offset:3360
.LBB0_27:
	s_or_b64 exec, exec, s[4:5]
	s_waitcnt lgkmcnt(0)
	s_barrier
	s_and_saveexec_b64 s[4:5], s[0:1]
	s_cbranch_execz .LBB0_29
; %bb.28:
	v_lshlrev_b32_e32 v38, 1, v41
	v_mov_b32_e32 v39, 0
	v_lshlrev_b64 v[14:15], 4, v[38:39]
	v_mov_b32_e32 v16, s9
	v_add_co_u32_e32 v1, vcc, s8, v14
	v_addc_co_u32_e32 v24, vcc, v16, v15, vcc
	v_add_co_u32_e32 v30, vcc, 0x1cc0, v1
	v_addc_co_u32_e32 v31, vcc, 0, v24, vcc
	v_lshlrev_b32_e32 v0, 1, v40
	v_add_co_u32_e32 v32, vcc, 0x1000, v1
	v_mov_b32_e32 v1, v39
	v_lshlrev_b64 v[0:1], 4, v[0:1]
	s_movk_i32 s4, 0x1cc0
	v_add_co_u32_e64 v14, s[0:1], s8, v0
	v_addc_co_u32_e64 v15, s[0:1], v16, v1, s[0:1]
	v_add_co_u32_e64 v0, s[0:1], s4, v14
	s_movk_i32 s6, 0x1000
	v_addc_co_u32_e64 v1, s[0:1], 0, v15, s[0:1]
	v_add_co_u32_e64 v22, s[0:1], s6, v14
	v_addc_co_u32_e64 v23, s[0:1], 0, v15, s[0:1]
	global_load_dwordx4 v[14:17], v[22:23], off offset:3264
	global_load_dwordx4 v[18:21], v[0:1], off offset:16
	v_addc_co_u32_e32 v33, vcc, 0, v24, vcc
	global_load_dwordx4 v[22:25], v[32:33], off offset:3264
	global_load_dwordx4 v[26:29], v[30:31], off offset:16
	v_lshrrev_b32_e32 v48, 1, v41
	s_mov_b32 s7, 0x8dda5203
	v_add_u32_e32 v0, 0xe00, v60
	v_mul_hi_u32 v50, v48, s7
	ds_read2_b64 v[30:33], v60 offset1:231
	v_add_u32_e32 v1, 0x1c80, v60
	ds_read2_b64 v[34:37], v0 offset0:14 offset1:245
	ds_read2_b64 v[44:47], v1 offset0:12 offset1:243
	v_mov_b32_e32 v41, v39
	v_mov_b32_e32 v38, s3
	v_add_co_u32_e32 v42, vcc, s2, v42
	v_lshlrev_b64 v[0:1], 4, v[40:41]
	v_addc_co_u32_e32 v38, vcc, v38, v43, vcc
	v_add_co_u32_e32 v40, vcc, v42, v0
	v_lshrrev_b32_e32 v0, 7, v50
	v_addc_co_u32_e32 v41, vcc, v38, v1, vcc
	v_mul_u32_u24_e32 v38, 0x39c, v0
	v_lshlrev_b64 v[0:1], 4, v[38:39]
	v_add_co_u32_e32 v42, vcc, s6, v40
	s_movk_i32 s3, 0x3000
	v_addc_co_u32_e32 v43, vcc, 0, v41, vcc
	v_add_co_u32_e32 v48, vcc, s3, v40
	v_addc_co_u32_e32 v49, vcc, 0, v41, vcc
	s_mov_b32 s0, 0xe8584caa
	s_mov_b32 s1, 0xbfebb67a
	;; [unrolled: 1-line block ×4, first 2 shown]
	s_waitcnt vmcnt(3)
	v_mul_f64 v[38:39], v[6:7], v[16:17]
	s_waitcnt vmcnt(2)
	v_mul_f64 v[50:51], v[10:11], v[20:21]
	s_waitcnt lgkmcnt(1)
	v_mul_f64 v[16:17], v[34:35], v[16:17]
	s_waitcnt lgkmcnt(0)
	v_mul_f64 v[20:21], v[44:45], v[20:21]
	s_waitcnt vmcnt(1)
	v_mul_f64 v[52:53], v[8:9], v[24:25]
	s_waitcnt vmcnt(0)
	v_mul_f64 v[54:55], v[12:13], v[28:29]
	v_mul_f64 v[24:25], v[36:37], v[24:25]
	;; [unrolled: 1-line block ×3, first 2 shown]
	v_fma_f64 v[34:35], v[34:35], v[14:15], -v[38:39]
	v_fma_f64 v[38:39], v[44:45], v[18:19], -v[50:51]
	v_fma_f64 v[6:7], v[6:7], v[14:15], v[16:17]
	v_fma_f64 v[10:11], v[10:11], v[18:19], v[20:21]
	v_add_co_u32_e32 v20, vcc, v40, v0
	v_addc_co_u32_e32 v21, vcc, v41, v1, vcc
	v_fma_f64 v[0:1], v[36:37], v[22:23], -v[52:53]
	v_fma_f64 v[14:15], v[46:47], v[26:27], -v[54:55]
	v_fma_f64 v[8:9], v[8:9], v[22:23], v[24:25]
	v_fma_f64 v[16:17], v[12:13], v[26:27], v[28:29]
	v_add_f64 v[12:13], v[34:35], v[38:39]
	v_add_f64 v[26:27], v[6:7], v[10:11]
	;; [unrolled: 1-line block ×3, first 2 shown]
	v_add_f64 v[18:19], v[6:7], -v[10:11]
	v_add_f64 v[6:7], v[2:3], v[6:7]
	v_add_f64 v[28:29], v[0:1], v[14:15]
	v_add_f64 v[24:25], v[34:35], -v[38:39]
	v_add_f64 v[46:47], v[8:9], v[16:17]
	v_add_f64 v[34:35], v[8:9], -v[16:17]
	v_add_f64 v[36:37], v[32:33], v[0:1]
	v_fma_f64 v[12:13], v[12:13], -0.5, v[30:31]
	v_add_f64 v[30:31], v[4:5], v[8:9]
	v_fma_f64 v[8:9], v[26:27], -0.5, v[2:3]
	v_add_f64 v[44:45], v[0:1], -v[14:15]
	v_add_f64 v[2:3], v[22:23], v[38:39]
	v_fma_f64 v[22:23], v[28:29], -0.5, v[32:33]
	v_fma_f64 v[26:27], v[46:47], -0.5, v[4:5]
	v_add_f64 v[0:1], v[6:7], v[10:11]
	v_add_f64 v[6:7], v[36:37], v[14:15]
	v_fma_f64 v[10:11], v[18:19], s[0:1], v[12:13]
	v_fma_f64 v[14:15], v[18:19], s[4:5], v[12:13]
	;; [unrolled: 1-line block ×4, first 2 shown]
	v_add_f64 v[4:5], v[30:31], v[16:17]
	v_fma_f64 v[18:19], v[34:35], s[4:5], v[22:23]
	v_fma_f64 v[16:17], v[44:45], s[0:1], v[26:27]
	global_store_dwordx4 v[40:41], v[0:3], off
	global_store_dwordx4 v[42:43], v[12:15], off offset:3296
	global_store_dwordx4 v[48:49], v[8:11], off offset:2496
	global_store_dwordx4 v[20:21], v[4:7], off offset:3696
	v_fma_f64 v[2:3], v[34:35], s[0:1], v[22:23]
	v_fma_f64 v[0:1], v[44:45], s[4:5], v[26:27]
	v_add_co_u32_e32 v4, vcc, 0x2000, v20
	v_addc_co_u32_e32 v5, vcc, 0, v21, vcc
	global_store_dwordx4 v[4:5], v[16:19], off offset:2896
	v_add_co_u32_e32 v4, vcc, 0x4000, v20
	v_addc_co_u32_e32 v5, vcc, 0, v21, vcc
	global_store_dwordx4 v[4:5], v[0:3], off offset:2096
.LBB0_29:
	s_endpgm
	.section	.rodata,"a",@progbits
	.p2align	6, 0x0
	.amdhsa_kernel fft_rtc_back_len1386_factors_2_7_3_11_3_wgs_231_tpt_231_halfLds_dp_ip_CI_unitstride_sbrr_dirReg
		.amdhsa_group_segment_fixed_size 0
		.amdhsa_private_segment_fixed_size 0
		.amdhsa_kernarg_size 88
		.amdhsa_user_sgpr_count 6
		.amdhsa_user_sgpr_private_segment_buffer 1
		.amdhsa_user_sgpr_dispatch_ptr 0
		.amdhsa_user_sgpr_queue_ptr 0
		.amdhsa_user_sgpr_kernarg_segment_ptr 1
		.amdhsa_user_sgpr_dispatch_id 0
		.amdhsa_user_sgpr_flat_scratch_init 0
		.amdhsa_user_sgpr_private_segment_size 0
		.amdhsa_uses_dynamic_stack 0
		.amdhsa_system_sgpr_private_segment_wavefront_offset 0
		.amdhsa_system_sgpr_workgroup_id_x 1
		.amdhsa_system_sgpr_workgroup_id_y 0
		.amdhsa_system_sgpr_workgroup_id_z 0
		.amdhsa_system_sgpr_workgroup_info 0
		.amdhsa_system_vgpr_workitem_id 0
		.amdhsa_next_free_vgpr 125
		.amdhsa_next_free_sgpr 40
		.amdhsa_reserve_vcc 1
		.amdhsa_reserve_flat_scratch 0
		.amdhsa_float_round_mode_32 0
		.amdhsa_float_round_mode_16_64 0
		.amdhsa_float_denorm_mode_32 3
		.amdhsa_float_denorm_mode_16_64 3
		.amdhsa_dx10_clamp 1
		.amdhsa_ieee_mode 1
		.amdhsa_fp16_overflow 0
		.amdhsa_exception_fp_ieee_invalid_op 0
		.amdhsa_exception_fp_denorm_src 0
		.amdhsa_exception_fp_ieee_div_zero 0
		.amdhsa_exception_fp_ieee_overflow 0
		.amdhsa_exception_fp_ieee_underflow 0
		.amdhsa_exception_fp_ieee_inexact 0
		.amdhsa_exception_int_div_zero 0
	.end_amdhsa_kernel
	.text
.Lfunc_end0:
	.size	fft_rtc_back_len1386_factors_2_7_3_11_3_wgs_231_tpt_231_halfLds_dp_ip_CI_unitstride_sbrr_dirReg, .Lfunc_end0-fft_rtc_back_len1386_factors_2_7_3_11_3_wgs_231_tpt_231_halfLds_dp_ip_CI_unitstride_sbrr_dirReg
                                        ; -- End function
	.section	.AMDGPU.csdata,"",@progbits
; Kernel info:
; codeLenInByte = 8012
; NumSgprs: 44
; NumVgprs: 125
; ScratchSize: 0
; MemoryBound: 1
; FloatMode: 240
; IeeeMode: 1
; LDSByteSize: 0 bytes/workgroup (compile time only)
; SGPRBlocks: 5
; VGPRBlocks: 31
; NumSGPRsForWavesPerEU: 44
; NumVGPRsForWavesPerEU: 125
; Occupancy: 2
; WaveLimiterHint : 1
; COMPUTE_PGM_RSRC2:SCRATCH_EN: 0
; COMPUTE_PGM_RSRC2:USER_SGPR: 6
; COMPUTE_PGM_RSRC2:TRAP_HANDLER: 0
; COMPUTE_PGM_RSRC2:TGID_X_EN: 1
; COMPUTE_PGM_RSRC2:TGID_Y_EN: 0
; COMPUTE_PGM_RSRC2:TGID_Z_EN: 0
; COMPUTE_PGM_RSRC2:TIDIG_COMP_CNT: 0
	.type	__hip_cuid_5e76f0f7e60d3df6,@object ; @__hip_cuid_5e76f0f7e60d3df6
	.section	.bss,"aw",@nobits
	.globl	__hip_cuid_5e76f0f7e60d3df6
__hip_cuid_5e76f0f7e60d3df6:
	.byte	0                               ; 0x0
	.size	__hip_cuid_5e76f0f7e60d3df6, 1

	.ident	"AMD clang version 19.0.0git (https://github.com/RadeonOpenCompute/llvm-project roc-6.4.0 25133 c7fe45cf4b819c5991fe208aaa96edf142730f1d)"
	.section	".note.GNU-stack","",@progbits
	.addrsig
	.addrsig_sym __hip_cuid_5e76f0f7e60d3df6
	.amdgpu_metadata
---
amdhsa.kernels:
  - .args:
      - .actual_access:  read_only
        .address_space:  global
        .offset:         0
        .size:           8
        .value_kind:     global_buffer
      - .offset:         8
        .size:           8
        .value_kind:     by_value
      - .actual_access:  read_only
        .address_space:  global
        .offset:         16
        .size:           8
        .value_kind:     global_buffer
      - .actual_access:  read_only
        .address_space:  global
        .offset:         24
        .size:           8
        .value_kind:     global_buffer
      - .offset:         32
        .size:           8
        .value_kind:     by_value
      - .actual_access:  read_only
        .address_space:  global
        .offset:         40
        .size:           8
        .value_kind:     global_buffer
      - .actual_access:  read_only
        .address_space:  global
        .offset:         48
        .size:           8
        .value_kind:     global_buffer
      - .offset:         56
        .size:           4
        .value_kind:     by_value
      - .actual_access:  read_only
        .address_space:  global
        .offset:         64
        .size:           8
        .value_kind:     global_buffer
      - .actual_access:  read_only
        .address_space:  global
        .offset:         72
        .size:           8
        .value_kind:     global_buffer
      - .address_space:  global
        .offset:         80
        .size:           8
        .value_kind:     global_buffer
    .group_segment_fixed_size: 0
    .kernarg_segment_align: 8
    .kernarg_segment_size: 88
    .language:       OpenCL C
    .language_version:
      - 2
      - 0
    .max_flat_workgroup_size: 231
    .name:           fft_rtc_back_len1386_factors_2_7_3_11_3_wgs_231_tpt_231_halfLds_dp_ip_CI_unitstride_sbrr_dirReg
    .private_segment_fixed_size: 0
    .sgpr_count:     44
    .sgpr_spill_count: 0
    .symbol:         fft_rtc_back_len1386_factors_2_7_3_11_3_wgs_231_tpt_231_halfLds_dp_ip_CI_unitstride_sbrr_dirReg.kd
    .uniform_work_group_size: 1
    .uses_dynamic_stack: false
    .vgpr_count:     125
    .vgpr_spill_count: 0
    .wavefront_size: 64
amdhsa.target:   amdgcn-amd-amdhsa--gfx906
amdhsa.version:
  - 1
  - 2
...

	.end_amdgpu_metadata
